;; amdgpu-corpus repo=llvm/llvm-project kind=harvested arch=n/a opt=n/a
// NOTE: Assertions have been autogenerated by utils/update_mc_test_checks.py UTC_ARGS: --unique --sort --version 5
// RUN: llvm-mc -triple=amdgcn -mcpu=gfx1200 -mattr=-real-true16 -show-encoding %s | FileCheck --check-prefix=GFX11 --implicit-check-not=_e32 %s

v_add_f16 v255, v1, v2
// GFX11: v_add_f16_e64 v255, v1, v2              ; encoding: [0xff,0x00,0x32,0xd5,0x01,0x05,0x02,0x02]

v_add_f16 v255, v1, v2 dpp8:[7,6,5,4,3,2,1,0]
// GFX11: v_add_f16_e64_dpp v255, v1, v2 dpp8:[7,6,5,4,3,2,1,0] ; encoding: [0xff,0x00,0x32,0xd5,0xe9,0x04,0x02,0x00,0x01,0x77,0x39,0x05]

v_add_f16 v255, v1, v2 quad_perm:[3,2,1,0]
// GFX11: v_add_f16_e64_dpp v255, v1, v2 quad_perm:[3,2,1,0] row_mask:0xf bank_mask:0xf ; encoding: [0xff,0x00,0x32,0xd5,0xfa,0x04,0x02,0x00,0x01,0x1b,0x00,0xff]

v_add_f16 v5, v1, v255
// GFX11: v_add_f16_e64 v5, v1, v255              ; encoding: [0x05,0x00,0x32,0xd5,0x01,0xff,0x03,0x02]

v_add_f16 v5, v1, v255 dpp8:[7,6,5,4,3,2,1,0]
// GFX11: v_add_f16_e64_dpp v5, v1, v255 dpp8:[7,6,5,4,3,2,1,0] ; encoding: [0x05,0x00,0x32,0xd5,0xe9,0xfe,0x03,0x00,0x01,0x77,0x39,0x05]

v_add_f16 v5, v1, v255 quad_perm:[3,2,1,0]
// GFX11: v_add_f16_e64_dpp v5, v1, v255 quad_perm:[3,2,1,0] row_mask:0xf bank_mask:0xf ; encoding: [0x05,0x00,0x32,0xd5,0xfa,0xfe,0x03,0x00,0x01,0x1b,0x00,0xff]
	;; [unrolled: 9-line block ×3, first 2 shown]

v_fmac_f16 v255, v1, v2
// GFX11: v_fmac_f16_e64 v255, v1, v2             ; encoding: [0xff,0x00,0x36,0xd5,0x01,0x05,0x02,0x02]

v_fmac_f16 v5, v1, v255
// GFX11: v_fmac_f16_e64 v5, v1, v255             ; encoding: [0x05,0x00,0x36,0xd5,0x01,0xff,0x03,0x02]

v_fmac_f16 v5, v255, v2
// GFX11: v_fmac_f16_e64 v5, v255, v2             ; encoding: [0x05,0x00,0x36,0xd5,0xff,0x05,0x02,0x02]

v_ldexp_f16 v255, v1, v2
// GFX11: v_ldexp_f16_e64 v255, v1, v2            ; encoding: [0xff,0x00,0x3b,0xd5,0x01,0x05,0x02,0x02]

v_ldexp_f16 v255, v1, v2 dpp8:[7,6,5,4,3,2,1,0]
// GFX11: v_ldexp_f16_e64_dpp v255, v1, v2 dpp8:[7,6,5,4,3,2,1,0] ; encoding: [0xff,0x00,0x3b,0xd5,0xe9,0x04,0x02,0x00,0x01,0x77,0x39,0x05]

v_ldexp_f16 v255, v1, v2 quad_perm:[3,2,1,0]
// GFX11: v_ldexp_f16_e64_dpp v255, v1, v2 quad_perm:[3,2,1,0] row_mask:0xf bank_mask:0xf ; encoding: [0xff,0x00,0x3b,0xd5,0xfa,0x04,0x02,0x00,0x01,0x1b,0x00,0xff]

v_ldexp_f16 v5, v255, v2
// GFX11: v_ldexp_f16_e64 v5, v255, v2            ; encoding: [0x05,0x00,0x3b,0xd5,0xff,0x05,0x02,0x02]

v_ldexp_f16 v5, v255, v2 dpp8:[7,6,5,4,3,2,1,0]
// GFX11: v_ldexp_f16_e64_dpp v5, v255, v2 dpp8:[7,6,5,4,3,2,1,0] ; encoding: [0x05,0x00,0x3b,0xd5,0xe9,0x04,0x02,0x00,0xff,0x77,0x39,0x05]

v_ldexp_f16 v5, v255, v2 quad_perm:[3,2,1,0]
// GFX11: v_ldexp_f16_e64_dpp v5, v255, v2 quad_perm:[3,2,1,0] row_mask:0xf bank_mask:0xf ; encoding: [0x05,0x00,0x3b,0xd5,0xfa,0x04,0x02,0x00,0xff,0x1b,0x00,0xff]

v_max_num_f16 v255, v1, v2
// GFX11: v_max_num_f16_e64 v255, v1, v2          ; encoding: [0xff,0x00,0x31,0xd5,0x01,0x05,0x02,0x02]

v_max_num_f16 v255, v1, v2 dpp8:[7,6,5,4,3,2,1,0]
// GFX11: v_max_num_f16_e64_dpp v255, v1, v2 dpp8:[7,6,5,4,3,2,1,0] ; encoding: [0xff,0x00,0x31,0xd5,0xe9,0x04,0x02,0x00,0x01,0x77,0x39,0x05]

v_max_num_f16 v255, v1, v2 quad_perm:[3,2,1,0]
// GFX11: v_max_num_f16_e64_dpp v255, v1, v2 quad_perm:[3,2,1,0] row_mask:0xf bank_mask:0xf ; encoding: [0xff,0x00,0x31,0xd5,0xfa,0x04,0x02,0x00,0x01,0x1b,0x00,0xff]

v_max_num_f16 v5, v1, v255
// GFX11: v_max_num_f16_e64 v5, v1, v255          ; encoding: [0x05,0x00,0x31,0xd5,0x01,0xff,0x03,0x02]

v_max_num_f16 v5, v1, v255 dpp8:[7,6,5,4,3,2,1,0]
// GFX11: v_max_num_f16_e64_dpp v5, v1, v255 dpp8:[7,6,5,4,3,2,1,0] ; encoding: [0x05,0x00,0x31,0xd5,0xe9,0xfe,0x03,0x00,0x01,0x77,0x39,0x05]

v_max_num_f16 v5, v1, v255 quad_perm:[3,2,1,0]
// GFX11: v_max_num_f16_e64_dpp v5, v1, v255 quad_perm:[3,2,1,0] row_mask:0xf bank_mask:0xf ; encoding: [0x05,0x00,0x31,0xd5,0xfa,0xfe,0x03,0x00,0x01,0x1b,0x00,0xff]
	;; [unrolled: 9-line block ×3, first 2 shown]

v_min_num_f16 v255, v1, v2
// GFX11: v_min_num_f16_e64 v255, v1, v2          ; encoding: [0xff,0x00,0x30,0xd5,0x01,0x05,0x02,0x02]

v_min_num_f16 v255, v1, v2 dpp8:[7,6,5,4,3,2,1,0]
// GFX11: v_min_num_f16_e64_dpp v255, v1, v2 dpp8:[7,6,5,4,3,2,1,0] ; encoding: [0xff,0x00,0x30,0xd5,0xe9,0x04,0x02,0x00,0x01,0x77,0x39,0x05]

v_min_num_f16 v255, v1, v2 quad_perm:[3,2,1,0]
// GFX11: v_min_num_f16_e64_dpp v255, v1, v2 quad_perm:[3,2,1,0] row_mask:0xf bank_mask:0xf ; encoding: [0xff,0x00,0x30,0xd5,0xfa,0x04,0x02,0x00,0x01,0x1b,0x00,0xff]

v_min_num_f16 v5, v1, v255
// GFX11: v_min_num_f16_e64 v5, v1, v255          ; encoding: [0x05,0x00,0x30,0xd5,0x01,0xff,0x03,0x02]

v_min_num_f16 v5, v1, v255 dpp8:[7,6,5,4,3,2,1,0]
// GFX11: v_min_num_f16_e64_dpp v5, v1, v255 dpp8:[7,6,5,4,3,2,1,0] ; encoding: [0x05,0x00,0x30,0xd5,0xe9,0xfe,0x03,0x00,0x01,0x77,0x39,0x05]

v_min_num_f16 v5, v1, v255 quad_perm:[3,2,1,0]
// GFX11: v_min_num_f16_e64_dpp v5, v1, v255 quad_perm:[3,2,1,0] row_mask:0xf bank_mask:0xf ; encoding: [0x05,0x00,0x30,0xd5,0xfa,0xfe,0x03,0x00,0x01,0x1b,0x00,0xff]
	;; [unrolled: 9-line block ×3, first 2 shown]

v_mul_f16 v255, v1, v2
// GFX11: v_mul_f16_e64 v255, v1, v2              ; encoding: [0xff,0x00,0x35,0xd5,0x01,0x05,0x02,0x02]

v_mul_f16 v255, v1, v2 dpp8:[7,6,5,4,3,2,1,0]
// GFX11: v_mul_f16_e64_dpp v255, v1, v2 dpp8:[7,6,5,4,3,2,1,0] ; encoding: [0xff,0x00,0x35,0xd5,0xe9,0x04,0x02,0x00,0x01,0x77,0x39,0x05]

v_mul_f16 v255, v1, v2 quad_perm:[3,2,1,0]
// GFX11: v_mul_f16_e64_dpp v255, v1, v2 quad_perm:[3,2,1,0] row_mask:0xf bank_mask:0xf ; encoding: [0xff,0x00,0x35,0xd5,0xfa,0x04,0x02,0x00,0x01,0x1b,0x00,0xff]

v_mul_f16 v5, v1, v255
// GFX11: v_mul_f16_e64 v5, v1, v255              ; encoding: [0x05,0x00,0x35,0xd5,0x01,0xff,0x03,0x02]

v_mul_f16 v5, v1, v255 dpp8:[7,6,5,4,3,2,1,0]
// GFX11: v_mul_f16_e64_dpp v5, v1, v255 dpp8:[7,6,5,4,3,2,1,0] ; encoding: [0x05,0x00,0x35,0xd5,0xe9,0xfe,0x03,0x00,0x01,0x77,0x39,0x05]

v_mul_f16 v5, v1, v255 quad_perm:[3,2,1,0]
// GFX11: v_mul_f16_e64_dpp v5, v1, v255 quad_perm:[3,2,1,0] row_mask:0xf bank_mask:0xf ; encoding: [0x05,0x00,0x35,0xd5,0xfa,0xfe,0x03,0x00,0x01,0x1b,0x00,0xff]
	;; [unrolled: 9-line block ×3, first 2 shown]

v_sub_f16 v255, v1, v2
// GFX11: v_sub_f16_e64 v255, v1, v2              ; encoding: [0xff,0x00,0x33,0xd5,0x01,0x05,0x02,0x02]

v_sub_f16 v255, v1, v2 dpp8:[7,6,5,4,3,2,1,0]
// GFX11: v_sub_f16_e64_dpp v255, v1, v2 dpp8:[7,6,5,4,3,2,1,0] ; encoding: [0xff,0x00,0x33,0xd5,0xe9,0x04,0x02,0x00,0x01,0x77,0x39,0x05]

v_sub_f16 v255, v1, v2 quad_perm:[3,2,1,0]
// GFX11: v_sub_f16_e64_dpp v255, v1, v2 quad_perm:[3,2,1,0] row_mask:0xf bank_mask:0xf ; encoding: [0xff,0x00,0x33,0xd5,0xfa,0x04,0x02,0x00,0x01,0x1b,0x00,0xff]

v_sub_f16 v5, v1, v255
// GFX11: v_sub_f16_e64 v5, v1, v255              ; encoding: [0x05,0x00,0x33,0xd5,0x01,0xff,0x03,0x02]

v_sub_f16 v5, v1, v255 dpp8:[7,6,5,4,3,2,1,0]
// GFX11: v_sub_f16_e64_dpp v5, v1, v255 dpp8:[7,6,5,4,3,2,1,0] ; encoding: [0x05,0x00,0x33,0xd5,0xe9,0xfe,0x03,0x00,0x01,0x77,0x39,0x05]

v_sub_f16 v5, v1, v255 quad_perm:[3,2,1,0]
// GFX11: v_sub_f16_e64_dpp v5, v1, v255 quad_perm:[3,2,1,0] row_mask:0xf bank_mask:0xf ; encoding: [0x05,0x00,0x33,0xd5,0xfa,0xfe,0x03,0x00,0x01,0x1b,0x00,0xff]
	;; [unrolled: 9-line block ×3, first 2 shown]

v_subrev_f16 v255, v1, v2
// GFX11: v_subrev_f16_e64 v255, v1, v2           ; encoding: [0xff,0x00,0x34,0xd5,0x01,0x05,0x02,0x02]

v_subrev_f16 v255, v1, v2 dpp8:[7,6,5,4,3,2,1,0]
// GFX11: v_subrev_f16_e64_dpp v255, v1, v2 dpp8:[7,6,5,4,3,2,1,0] ; encoding: [0xff,0x00,0x34,0xd5,0xe9,0x04,0x02,0x00,0x01,0x77,0x39,0x05]

v_subrev_f16 v255, v1, v2 quad_perm:[3,2,1,0]
// GFX11: v_subrev_f16_e64_dpp v255, v1, v2 quad_perm:[3,2,1,0] row_mask:0xf bank_mask:0xf ; encoding: [0xff,0x00,0x34,0xd5,0xfa,0x04,0x02,0x00,0x01,0x1b,0x00,0xff]

v_subrev_f16 v5, v1, v255
// GFX11: v_subrev_f16_e64 v5, v1, v255           ; encoding: [0x05,0x00,0x34,0xd5,0x01,0xff,0x03,0x02]

v_subrev_f16 v5, v1, v255 dpp8:[7,6,5,4,3,2,1,0]
// GFX11: v_subrev_f16_e64_dpp v5, v1, v255 dpp8:[7,6,5,4,3,2,1,0] ; encoding: [0x05,0x00,0x34,0xd5,0xe9,0xfe,0x03,0x00,0x01,0x77,0x39,0x05]

v_subrev_f16 v5, v1, v255 quad_perm:[3,2,1,0]
// GFX11: v_subrev_f16_e64_dpp v5, v1, v255 quad_perm:[3,2,1,0] row_mask:0xf bank_mask:0xf ; encoding: [0x05,0x00,0x34,0xd5,0xfa,0xfe,0x03,0x00,0x01,0x1b,0x00,0xff]
	;; [unrolled: 9-line block ×3, first 2 shown]
